;; amdgpu-corpus repo=ROCm/rocFFT kind=compiled arch=gfx950 opt=O3
	.text
	.amdgcn_target "amdgcn-amd-amdhsa--gfx950"
	.amdhsa_code_object_version 6
	.protected	bluestein_single_back_len50_dim1_sp_op_CI_CI ; -- Begin function bluestein_single_back_len50_dim1_sp_op_CI_CI
	.globl	bluestein_single_back_len50_dim1_sp_op_CI_CI
	.p2align	8
	.type	bluestein_single_back_len50_dim1_sp_op_CI_CI,@function
bluestein_single_back_len50_dim1_sp_op_CI_CI: ; @bluestein_single_back_len50_dim1_sp_op_CI_CI
; %bb.0:
	s_load_dwordx4 s[8:11], s[0:1], 0x28
	v_mul_u32_u24_e32 v1, 0x199a, v0
	v_lshrrev_b32_e32 v2, 16, v1
	v_mad_u64_u32 v[28:29], s[2:3], s2, 25, v[2:3]
	v_mov_b32_e32 v29, 0
	s_waitcnt lgkmcnt(0)
	v_cmp_gt_u64_e32 vcc, s[8:9], v[28:29]
	s_and_saveexec_b64 s[2:3], vcc
	s_cbranch_execz .LBB0_15
; %bb.1:
	v_mul_lo_u16_e32 v1, 10, v2
	s_mov_b32 s2, 0x51eb851f
	v_sub_u16_e32 v38, v0, v1
	v_mul_hi_u32 v0, v28, s2
	s_load_dwordx2 s[8:9], s[0:1], 0x0
	s_load_dwordx2 s[12:13], s[0:1], 0x38
	v_lshrrev_b32_e32 v0, 3, v0
	v_mul_lo_u32 v0, v0, 25
	v_sub_u32_e32 v0, v28, v0
	v_mul_u32_u24_e32 v40, 50, v0
	v_cmp_gt_u16_e32 vcc, 5, v38
	v_lshlrev_b32_e32 v39, 3, v38
	v_lshlrev_b32_e32 v41, 3, v40
	v_or_b32_e32 v29, 40, v38
	s_and_saveexec_b64 s[2:3], vcc
	s_cbranch_execz .LBB0_3
; %bb.2:
	s_load_dwordx2 s[4:5], s[0:1], 0x18
	v_mov_b32_e32 v0, s10
	v_mov_b32_e32 v1, s11
	;; [unrolled: 1-line block ×3, first 2 shown]
	v_lshl_add_u32 v49, v38, 3, v41
	s_waitcnt lgkmcnt(0)
	s_load_dwordx4 s[4:7], s[4:5], 0x0
	v_add_u32_e32 v50, v41, v39
	s_waitcnt lgkmcnt(0)
	v_mad_u64_u32 v[2:3], s[10:11], s6, v28, 0
	v_mad_u64_u32 v[4:5], s[10:11], s4, v38, 0
	v_mov_b32_e32 v6, v3
	v_mov_b32_e32 v8, v5
	v_mad_u64_u32 v[6:7], s[6:7], s7, v28, v[6:7]
	v_mov_b32_e32 v3, v6
	v_mad_u64_u32 v[6:7], s[6:7], s5, v38, v[8:9]
	v_mad_u64_u32 v[8:9], s[6:7], s4, v29, 0
	v_mov_b32_e32 v5, v6
	v_lshl_add_u64 v[0:1], v[2:3], 3, v[0:1]
	v_mov_b32_e32 v10, v9
	v_lshl_add_u64 v[2:3], v[4:5], 3, v[0:1]
	v_mad_u64_u32 v[10:11], s[6:7], s5, v29, v[10:11]
	v_mad_u64_u32 v[6:7], s[6:7], s4, 40, v[2:3]
	s_mul_i32 s10, s5, 40
	v_mov_b32_e32 v9, v10
	v_add_u32_e32 v7, s10, v7
	v_lshl_add_u64 v[0:1], v[8:9], 3, v[0:1]
	global_load_dwordx2 v[4:5], v39, s[8:9]
	global_load_dwordx2 v[8:9], v[2:3], off
	global_load_dwordx2 v[10:11], v[0:1], off
	global_load_dwordx2 v[12:13], v39, s[8:9] offset:320
	global_load_dwordx2 v[14:15], v39, s[8:9] offset:40
	v_mad_u64_u32 v[0:1], s[6:7], s4, 40, v[6:7]
	v_add_u32_e32 v1, s10, v1
	global_load_dwordx2 v[2:3], v[6:7], off
	global_load_dwordx2 v[16:17], v[0:1], off
	v_mad_u64_u32 v[0:1], s[6:7], s4, 40, v[0:1]
	v_add_u32_e32 v1, s10, v1
	v_mad_u64_u32 v[20:21], s[6:7], s4, 40, v[0:1]
	global_load_dwordx2 v[6:7], v39, s[8:9] offset:80
	global_load_dwordx2 v[18:19], v39, s[8:9] offset:120
	v_add_u32_e32 v21, s10, v21
	global_load_dwordx2 v[0:1], v[0:1], off
	s_nop 0
	global_load_dwordx2 v[22:23], v[20:21], off
	global_load_dwordx2 v[24:25], v39, s[8:9] offset:160
	v_mad_u64_u32 v[20:21], s[6:7], s4, 40, v[20:21]
	v_add_u32_e32 v21, s10, v21
	global_load_dwordx2 v[26:27], v[20:21], off
	global_load_dwordx2 v[30:31], v39, s[8:9] offset:200
	v_mad_u64_u32 v[20:21], s[6:7], s4, 40, v[20:21]
	v_add_u32_e32 v21, s10, v21
	;; [unrolled: 4-line block ×3, first 2 shown]
	global_load_dwordx2 v[36:37], v[20:21], off
	global_load_dwordx2 v[42:43], v39, s[8:9] offset:280
	v_mad_u64_u32 v[20:21], s[6:7], s4, v44, v[20:21]
	s_mul_i32 s4, s5, 0x50
	v_add_u32_e32 v21, s4, v21
	global_load_dwordx2 v[44:45], v39, s[8:9] offset:360
	global_load_dwordx2 v[46:47], v[20:21], off
	s_waitcnt vmcnt(18)
	v_mul_f32_e32 v20, v9, v5
	v_mul_f32_e32 v5, v8, v5
	v_fmac_f32_e32 v20, v8, v4
	v_fma_f32 v21, v9, v4, -v5
	s_waitcnt vmcnt(14)
	v_mul_f32_e32 v4, v3, v15
	v_mul_f32_e32 v5, v2, v15
	v_fmac_f32_e32 v4, v2, v14
	v_fma_f32 v5, v3, v14, -v5
	ds_write_b64 v49, v[20:21]
	v_mul_f32_e32 v48, v11, v13
	v_fmac_f32_e32 v48, v10, v12
	s_waitcnt vmcnt(12)
	v_mul_f32_e32 v2, v17, v7
	v_mul_f32_e32 v3, v16, v7
	v_fmac_f32_e32 v2, v16, v6
	v_fma_f32 v3, v17, v6, -v3
	ds_write2_b64 v50, v[4:5], v[2:3] offset0:5 offset1:10
	s_waitcnt vmcnt(10)
	v_mul_f32_e32 v2, v1, v19
	v_mul_f32_e32 v3, v0, v19
	v_fmac_f32_e32 v2, v0, v18
	v_fma_f32 v3, v1, v18, -v3
	s_waitcnt vmcnt(8)
	v_mul_f32_e32 v0, v23, v25
	v_mul_f32_e32 v1, v22, v25
	v_fmac_f32_e32 v0, v22, v24
	v_fma_f32 v1, v23, v24, -v1
	ds_write2_b64 v50, v[2:3], v[0:1] offset0:15 offset1:20
	s_waitcnt vmcnt(6)
	v_mul_f32_e32 v0, v27, v31
	v_mul_f32_e32 v1, v26, v31
	s_waitcnt vmcnt(4)
	v_mul_f32_e32 v2, v33, v35
	v_mul_f32_e32 v3, v32, v35
	v_fmac_f32_e32 v0, v26, v30
	v_fma_f32 v1, v27, v30, -v1
	v_fmac_f32_e32 v2, v32, v34
	v_fma_f32 v3, v33, v34, -v3
	ds_write2_b64 v50, v[0:1], v[2:3] offset0:25 offset1:30
	s_waitcnt vmcnt(2)
	v_mul_f32_e32 v0, v37, v43
	v_mul_f32_e32 v1, v36, v43
	;; [unrolled: 1-line block ×3, first 2 shown]
	v_fmac_f32_e32 v0, v36, v42
	v_fma_f32 v1, v37, v42, -v1
	v_fma_f32 v49, v11, v12, -v2
	ds_write2_b64 v50, v[0:1], v[48:49] offset0:35 offset1:40
	s_waitcnt vmcnt(0)
	v_mul_f32_e32 v0, v47, v45
	v_mul_f32_e32 v1, v46, v45
	v_fmac_f32_e32 v0, v46, v44
	v_fma_f32 v1, v47, v44, -v1
	ds_write_b64 v50, v[0:1] offset:360
.LBB0_3:
	s_or_b64 exec, exec, s[2:3]
	s_load_dwordx2 s[2:3], s[0:1], 0x20
	s_load_dwordx2 s[4:5], s[0:1], 0x8
	s_waitcnt lgkmcnt(0)
	s_barrier
	s_waitcnt lgkmcnt(0)
                                        ; implicit-def: $vgpr16
                                        ; implicit-def: $vgpr4
                                        ; implicit-def: $vgpr12
                                        ; implicit-def: $vgpr8
                                        ; implicit-def: $vgpr0
                                        ; implicit-def: $vgpr20
                                        ; implicit-def: $vgpr22
                                        ; implicit-def: $vgpr6
                                        ; implicit-def: $vgpr18
                                        ; implicit-def: $vgpr10
	s_and_saveexec_b64 s[0:1], vcc
	s_cbranch_execz .LBB0_5
; %bb.4:
	v_lshl_add_u32 v12, v40, 3, v39
	ds_read2_b64 v[4:7], v12 offset0:20 offset1:25
	ds_read2_b64 v[0:3], v12 offset1:5
	ds_read2_b64 v[16:19], v12 offset0:10 offset1:15
	ds_read2_b64 v[8:11], v12 offset0:30 offset1:35
	;; [unrolled: 1-line block ×3, first 2 shown]
	s_waitcnt lgkmcnt(4)
	v_mov_b32_e32 v20, v7
	v_mov_b32_e32 v21, v6
	s_waitcnt lgkmcnt(2)
	v_mov_b32_e32 v22, v19
	v_mov_b32_e32 v23, v18
	;; [unrolled: 3-line block ×4, first 2 shown]
	v_mov_b32_e32 v10, v3
	v_mov_b32_e32 v11, v2
.LBB0_5:
	s_or_b64 exec, exec, s[0:1]
	v_pk_add_f32 v[2:3], v[0:1], v[16:17]
	v_pk_add_f32 v[14:15], v[4:5], v[8:9]
	;; [unrolled: 1-line block ×3, first 2 shown]
	s_mov_b32 s10, 0x3f737871
	v_pk_add_f32 v[2:3], v[2:3], v[8:9]
	v_pk_add_f32 v[24:25], v[16:17], v[12:13] neg_lo:[0,1] neg_hi:[0,1]
	v_pk_add_f32 v[26:27], v[4:5], v[8:9] neg_lo:[0,1] neg_hi:[0,1]
	;; [unrolled: 1-line block ×3, first 2 shown]
	v_pk_add_f32 v[34:35], v[16:17], v[12:13]
	v_pk_add_f32 v[16:17], v[4:5], v[16:17] neg_lo:[0,1] neg_hi:[0,1]
	v_pk_add_f32 v[4:5], v[2:3], v[12:13]
	v_pk_fma_f32 v[2:3], v[14:15], 0.5, v[0:1] op_sel_hi:[1,0,1] neg_lo:[1,0,0] neg_hi:[1,0,0]
	s_mov_b32 s11, 0xbf737871
	v_pk_add_f32 v[32:33], v[12:13], v[8:9] neg_lo:[0,1] neg_hi:[0,1]
	v_pk_add_f32 v[36:37], v[8:9], v[12:13] neg_lo:[0,1] neg_hi:[0,1]
	v_pk_fma_f32 v[8:9], v[24:25], s[10:11], v[2:3] op_sel:[1,0,0] op_sel_hi:[0,0,1]
	v_pk_fma_f32 v[2:3], v[24:25], s[10:11], v[2:3] op_sel:[1,0,0] op_sel_hi:[0,0,1] neg_lo:[1,0,0] neg_hi:[1,0,0]
	s_mov_b32 s14, 0x3f167918
	v_pk_fma_f32 v[2:3], v[26:27], s[14:15], v[2:3] op_sel:[1,0,0] op_sel_hi:[0,0,1] neg_lo:[1,0,0] neg_hi:[1,0,0]
	v_pk_fma_f32 v[12:13], v[26:27], s[14:15], v[8:9] op_sel:[1,0,0] op_sel_hi:[0,0,1]
	v_pk_fma_f32 v[0:1], v[34:35], 0.5, v[0:1] op_sel_hi:[1,0,1] neg_lo:[1,0,0] neg_hi:[1,0,0]
	v_mov_b32_e32 v8, v12
	v_mov_b32_e32 v9, v3
	v_pk_add_f32 v[14:15], v[30:31], v[32:33]
	s_mov_b32 s6, 0x3e9e377a
	v_mov_b32_e32 v3, v13
	v_pk_fma_f32 v[12:13], v[26:27], s[10:11], v[0:1] op_sel:[1,0,0] op_sel_hi:[0,0,1] neg_lo:[1,0,0] neg_hi:[1,0,0]
	v_pk_fma_f32 v[0:1], v[26:27], s[10:11], v[0:1] op_sel:[1,0,0] op_sel_hi:[0,0,1]
	v_pk_add_f32 v[56:57], v[20:21], v[6:7]
	v_pk_fma_f32 v[8:9], v[14:15], s[6:7], v[8:9] op_sel_hi:[1,0,1]
	v_pk_fma_f32 v[2:3], v[14:15], s[6:7], v[2:3] op_sel_hi:[1,0,1]
	v_pk_fma_f32 v[14:15], v[24:25], s[14:15], v[0:1] op_sel:[1,0,0] op_sel_hi:[0,0,1] neg_lo:[1,0,0] neg_hi:[1,0,0]
	v_pk_fma_f32 v[12:13], v[24:25], s[14:15], v[12:13] op_sel:[1,0,0] op_sel_hi:[0,0,1]
	v_pk_add_f32 v[44:45], v[22:23], v[18:19] neg_lo:[0,1] neg_hi:[0,1]
	v_mov_b32_e32 v0, v12
	v_mov_b32_e32 v1, v15
	v_pk_add_f32 v[16:17], v[16:17], v[36:37]
	v_mov_b32_e32 v15, v13
	v_pk_fma_f32 v[12:13], v[56:57], 0.5, v[10:11] op_sel_hi:[1,0,1] neg_lo:[1,0,0] neg_hi:[1,0,0]
	v_pk_add_f32 v[42:43], v[10:11], v[22:23]
	v_pk_add_f32 v[46:47], v[20:21], v[6:7] neg_lo:[0,1] neg_hi:[0,1]
	v_pk_add_f32 v[48:49], v[22:23], v[20:21] neg_lo:[0,1] neg_hi:[0,1]
	;; [unrolled: 1-line block ×4, first 2 shown]
	v_pk_add_f32 v[58:59], v[22:23], v[18:19]
	v_pk_fma_f32 v[22:23], v[16:17], s[6:7], v[14:15] op_sel_hi:[1,0,1]
	v_pk_fma_f32 v[14:15], v[44:45], s[10:11], v[12:13] op_sel:[1,0,0] op_sel_hi:[0,0,1]
	v_pk_fma_f32 v[12:13], v[44:45], s[10:11], v[12:13] op_sel:[1,0,0] op_sel_hi:[0,0,1] neg_lo:[1,0,0] neg_hi:[1,0,0]
	v_pk_fma_f32 v[0:1], v[16:17], s[6:7], v[0:1] op_sel_hi:[1,0,1]
	v_pk_add_f32 v[16:17], v[48:49], v[50:51]
	v_pk_fma_f32 v[14:15], v[46:47], s[14:15], v[14:15] op_sel:[1,0,0] op_sel_hi:[0,0,1]
	v_pk_add_f32 v[20:21], v[42:43], v[20:21]
	v_pk_fma_f32 v[12:13], v[46:47], s[14:15], v[12:13] op_sel:[1,0,0] op_sel_hi:[0,0,1] neg_lo:[1,0,0] neg_hi:[1,0,0]
	v_pk_add_f32 v[54:55], v[6:7], v[18:19] neg_lo:[0,1] neg_hi:[0,1]
	v_pk_fma_f32 v[24:25], v[16:17], s[6:7], v[14:15] op_sel_hi:[1,0,1]
	v_pk_add_f32 v[6:7], v[20:21], v[6:7]
	v_mov_b32_e32 v15, v13
	v_pk_fma_f32 v[10:11], v[58:59], 0.5, v[10:11] op_sel_hi:[1,0,1] neg_lo:[1,0,0] neg_hi:[1,0,0]
	v_pk_add_f32 v[6:7], v[6:7], v[18:19]
	v_pk_fma_f32 v[18:19], v[16:17], s[6:7], v[12:13] op_sel_hi:[1,0,1]
	v_pk_fma_f32 v[12:13], v[16:17], s[6:7], v[14:15] op_sel_hi:[1,0,1]
	v_pk_fma_f32 v[14:15], v[46:47], s[10:11], v[10:11] op_sel:[1,0,0] op_sel_hi:[0,0,1] neg_lo:[1,0,0] neg_hi:[1,0,0]
	v_pk_fma_f32 v[10:11], v[46:47], s[10:11], v[10:11] op_sel:[1,0,0] op_sel_hi:[0,0,1]
	v_pk_fma_f32 v[14:15], v[44:45], s[14:15], v[14:15] op_sel:[1,0,0] op_sel_hi:[0,0,1]
	v_pk_fma_f32 v[10:11], v[44:45], s[14:15], v[10:11] op_sel:[1,0,0] op_sel_hi:[0,0,1] neg_lo:[1,0,0] neg_hi:[1,0,0]
	v_mov_b32_e32 v17, v15
	v_pk_add_f32 v[20:21], v[52:53], v[54:55]
	v_mov_b32_e32 v15, v11
	s_mov_b32 s0, 0x3f4f1bbd
	s_mov_b32 s1, s14
	v_mov_b32_e32 v16, v10
	v_pk_fma_f32 v[10:11], v[20:21], s[6:7], v[14:15] op_sel_hi:[1,0,1]
	v_pk_mul_f32 v[14:15], v[24:25], s[0:1] op_sel:[1,0]
	s_mov_b32 s15, s0
	v_pk_fma_f32 v[16:17], v[20:21], s[6:7], v[16:17] op_sel_hi:[1,0,1]
	v_pk_fma_f32 v[26:27], v[18:19], s[14:15], v[14:15]
	v_pk_fma_f32 v[14:15], v[18:19], s[14:15], v[14:15] op_sel_hi:[0,1,1] neg_lo:[0,0,1] neg_hi:[0,0,1]
	v_mov_b32_e32 v27, v15
	v_pk_mul_f32 v[14:15], v[16:17], s[10:11] op_sel_hi:[1,0]
	s_mov_b32 s15, 0xbf167918
	v_pk_fma_f32 v[18:19], v[16:17], s[6:7], v[14:15] op_sel:[0,0,1] op_sel_hi:[1,0,0]
	v_pk_fma_f32 v[14:15], v[16:17], s[6:7], v[14:15] op_sel:[0,0,1] op_sel_hi:[1,0,0] neg_lo:[0,0,1] neg_hi:[0,0,1]
	v_mov_b32_e32 v20, v19
	v_mov_b32_e32 v21, v14
	v_pk_mul_f32 v[14:15], v[10:11], s[6:7] op_sel_hi:[1,0]
	v_mul_lo_u16_e32 v44, 10, v38
	v_pk_fma_f32 v[30:31], v[10:11], s[10:11], v[14:15] op_sel:[0,0,1] op_sel_hi:[1,1,0] neg_lo:[0,0,1] neg_hi:[0,0,1]
	v_pk_mul_f32 v[10:11], v[12:13], s[0:1] op_sel_hi:[1,0]
	v_pk_add_f32 v[14:15], v[0:1], v[20:21] neg_lo:[0,1] neg_hi:[0,1]
	v_pk_fma_f32 v[24:25], v[12:13], s[14:15], v[10:11] op_sel:[0,0,1] op_sel_hi:[1,1,0] neg_lo:[0,0,1] neg_hi:[0,0,1]
	v_pk_add_f32 v[10:11], v[4:5], v[6:7] op_sel:[0,1] op_sel_hi:[1,0] neg_lo:[0,1] neg_hi:[0,1]
	v_pk_add_f32 v[12:13], v[8:9], v[26:27] neg_lo:[0,1] neg_hi:[0,1]
	v_pk_add_f32 v[16:17], v[22:23], v[30:31] neg_lo:[0,1] neg_hi:[0,1]
	;; [unrolled: 1-line block ×3, first 2 shown]
	s_barrier
	s_and_saveexec_b64 s[0:1], vcc
	s_cbranch_execz .LBB0_7
; %bb.6:
	v_mov_b32_e32 v32, v7
	v_mov_b32_e32 v33, v6
	v_add_lshl_u32 v34, v40, v44, 3
	v_pk_add_f32 v[4:5], v[4:5], v[32:33]
	v_pk_add_f32 v[6:7], v[8:9], v[26:27]
	ds_write_b128 v34, v[4:7]
	v_pk_add_f32 v[4:5], v[0:1], v[20:21]
	v_pk_add_f32 v[6:7], v[22:23], v[30:31]
	;; [unrolled: 1-line block ×3, first 2 shown]
	ds_write_b128 v34, v[4:7] offset:16
	ds_write_b128 v34, v[8:11] offset:32
	;; [unrolled: 1-line block ×4, first 2 shown]
.LBB0_7:
	s_or_b64 exec, exec, s[0:1]
	v_lshlrev_b32_e32 v8, 5, v38
	s_load_dwordx4 s[0:3], s[2:3], 0x0
	s_waitcnt lgkmcnt(0)
	s_barrier
	global_load_dwordx4 v[4:7], v8, s[4:5]
	global_load_dwordx4 v[0:3], v8, s[4:5] offset:16
	v_add_lshl_u32 v43, v40, v38, 3
	ds_read2_b64 v[20:23], v43 offset1:10
	ds_read2_b64 v[24:27], v43 offset0:20 offset1:30
	ds_read_b64 v[8:9], v43 offset:320
	v_lshl_add_u32 v42, v38, 3, v41
	s_waitcnt vmcnt(1) lgkmcnt(2)
	v_pk_mul_f32 v[30:31], v[22:23], v[4:5] op_sel:[0,1]
	v_mov_b32_e32 v32, v7
	s_waitcnt vmcnt(0) lgkmcnt(1)
	v_pk_mul_f32 v[34:35], v[26:27], v[0:1] op_sel:[0,1]
	v_mov_b32_e32 v36, v3
	v_pk_fma_f32 v[46:47], v[22:23], v[4:5], v[30:31] op_sel:[0,0,1] op_sel_hi:[1,1,0] neg_lo:[0,0,1] neg_hi:[0,0,1]
	v_pk_fma_f32 v[22:23], v[22:23], v[4:5], v[30:31] op_sel:[0,0,1] op_sel_hi:[1,0,0]
	v_pk_mul_f32 v[30:31], v[24:25], v[32:33] op_sel_hi:[1,0]
	v_pk_fma_f32 v[32:33], v[26:27], v[0:1], v[34:35] op_sel:[0,0,1] op_sel_hi:[1,1,0] neg_lo:[0,0,1] neg_hi:[0,0,1]
	v_pk_fma_f32 v[26:27], v[26:27], v[0:1], v[34:35] op_sel:[0,0,1] op_sel_hi:[1,0,0]
	s_waitcnt lgkmcnt(0)
	v_pk_mul_f32 v[34:35], v[8:9], v[36:37] op_sel_hi:[1,0]
	v_mov_b32_e32 v47, v23
	v_pk_fma_f32 v[22:23], v[24:25], v[6:7], v[30:31] op_sel:[0,0,1] op_sel_hi:[1,1,0] neg_lo:[0,0,1] neg_hi:[0,0,1]
	v_pk_fma_f32 v[24:25], v[24:25], v[6:7], v[30:31] op_sel:[0,0,1] op_sel_hi:[1,0,0]
	v_mov_b32_e32 v33, v27
	v_pk_fma_f32 v[26:27], v[8:9], v[2:3], v[34:35] op_sel:[0,0,1] op_sel_hi:[1,1,0] neg_lo:[0,0,1] neg_hi:[0,0,1]
	v_pk_fma_f32 v[8:9], v[8:9], v[2:3], v[34:35] op_sel:[0,0,1] op_sel_hi:[1,0,0]
	v_mov_b32_e32 v23, v25
	v_mov_b32_e32 v27, v9
	v_pk_add_f32 v[8:9], v[20:21], v[46:47]
	v_pk_add_f32 v[24:25], v[22:23], v[32:33]
	;; [unrolled: 1-line block ×3, first 2 shown]
	v_pk_add_f32 v[36:37], v[46:47], v[22:23] neg_lo:[0,1] neg_hi:[0,1]
	v_pk_add_f32 v[48:49], v[26:27], v[32:33] neg_lo:[0,1] neg_hi:[0,1]
	v_pk_add_f32 v[50:51], v[46:47], v[26:27]
	v_pk_add_f32 v[30:31], v[46:47], v[26:27] neg_lo:[0,1] neg_hi:[0,1]
	v_pk_add_f32 v[34:35], v[22:23], v[32:33] neg_lo:[0,1] neg_hi:[0,1]
	;; [unrolled: 1-line block ×4, first 2 shown]
	v_pk_add_f32 v[8:9], v[8:9], v[32:33]
	v_pk_fma_f32 v[24:25], v[24:25], 0.5, v[20:21] op_sel_hi:[1,0,1] neg_lo:[1,0,0] neg_hi:[1,0,0]
	v_pk_add_f32 v[32:33], v[36:37], v[48:49]
	v_pk_fma_f32 v[36:37], v[50:51], 0.5, v[20:21] op_sel_hi:[1,0,1] neg_lo:[1,0,0] neg_hi:[1,0,0]
	v_pk_add_f32 v[46:47], v[22:23], v[46:47]
	v_pk_add_f32 v[20:21], v[8:9], v[26:27]
	v_pk_fma_f32 v[8:9], v[30:31], s[10:11], v[24:25] op_sel:[1,0,0] op_sel_hi:[0,0,1]
	v_pk_fma_f32 v[22:23], v[30:31], s[10:11], v[24:25] op_sel:[1,0,0] op_sel_hi:[0,0,1] neg_lo:[1,0,0] neg_hi:[1,0,0]
	v_pk_fma_f32 v[24:25], v[34:35], s[10:11], v[36:37] op_sel:[1,0,0] op_sel_hi:[0,0,1] neg_lo:[1,0,0] neg_hi:[1,0,0]
	v_pk_fma_f32 v[26:27], v[34:35], s[10:11], v[36:37] op_sel:[1,0,0] op_sel_hi:[0,0,1]
	v_pk_fma_f32 v[36:37], v[34:35], s[14:15], v[22:23] op_sel:[1,0,0] op_sel_hi:[0,0,1] neg_lo:[1,0,0] neg_hi:[1,0,0]
	v_pk_fma_f32 v[8:9], v[34:35], s[14:15], v[8:9] op_sel:[1,0,0] op_sel_hi:[0,0,1]
	;; [unrolled: 2-line block ×3, first 2 shown]
	v_mov_b32_e32 v24, v8
	v_mov_b32_e32 v25, v37
	v_mov_b32_e32 v37, v9
	v_mov_b32_e32 v30, v22
	v_mov_b32_e32 v31, v27
	v_mov_b32_e32 v27, v23
	v_pk_fma_f32 v[22:23], v[32:33], s[6:7], v[24:25] op_sel_hi:[1,0,1]
	v_pk_fma_f32 v[8:9], v[32:33], s[6:7], v[36:37] op_sel_hi:[1,0,1]
	;; [unrolled: 1-line block ×4, first 2 shown]
	ds_write2_b64 v42, v[20:21], v[22:23] offset1:10
	ds_write2_b64 v42, v[24:25], v[26:27] offset0:20 offset1:30
	ds_write_b64 v42, v[8:9] offset:320
	s_waitcnt lgkmcnt(0)
	s_barrier
	s_and_saveexec_b64 s[4:5], vcc
	s_cbranch_execz .LBB0_9
; %bb.8:
	global_load_dwordx2 v[58:59], v39, s[8:9] offset:400
	s_add_u32 s6, s8, 0x190
	s_addc_u32 s7, s9, 0
	global_load_dwordx2 v[60:61], v39, s[6:7] offset:40
	global_load_dwordx2 v[62:63], v39, s[6:7] offset:80
	;; [unrolled: 1-line block ×9, first 2 shown]
	ds_read2_b64 v[30:33], v42 offset1:5
	ds_read2_b64 v[34:37], v42 offset0:10 offset1:15
	ds_read2_b64 v[46:49], v42 offset0:20 offset1:25
	;; [unrolled: 1-line block ×4, first 2 shown]
	s_waitcnt vmcnt(6) lgkmcnt(3)
	v_mul_f32_e32 v80, v37, v65
	s_waitcnt vmcnt(5) lgkmcnt(2)
	v_mul_f32_e32 v81, v47, v67
	s_waitcnt vmcnt(4)
	v_mul_f32_e32 v82, v49, v69
	v_mul_f32_e32 v45, v31, v59
	v_mul_f32_e32 v79, v30, v59
	v_fma_f32 v78, v30, v58, -v45
	v_fmac_f32_e32 v79, v31, v58
	v_mul_f32_e32 v30, v33, v61
	v_mul_f32_e32 v31, v32, v61
	;; [unrolled: 1-line block ×7, first 2 shown]
	s_waitcnt vmcnt(3) lgkmcnt(1)
	v_mul_f32_e32 v83, v51, v71
	v_mul_f32_e32 v67, v50, v71
	s_waitcnt vmcnt(2)
	v_mul_f32_e32 v84, v53, v73
	v_mul_f32_e32 v69, v52, v73
	s_waitcnt vmcnt(1) lgkmcnt(0)
	v_mul_f32_e32 v85, v55, v75
	v_mul_f32_e32 v71, v54, v75
	s_waitcnt vmcnt(0)
	v_mul_f32_e32 v75, v57, v77
	v_mul_f32_e32 v73, v56, v77
	v_fma_f32 v30, v32, v60, -v30
	v_fmac_f32_e32 v31, v33, v60
	v_fma_f32 v58, v34, v62, -v45
	v_fmac_f32_e32 v59, v35, v62
	;; [unrolled: 2-line block ×9, first 2 shown]
	ds_write2_b64 v42, v[78:79], v[30:31] offset1:5
	ds_write2_b64 v42, v[58:59], v[60:61] offset0:10 offset1:15
	ds_write2_b64 v42, v[62:63], v[64:65] offset0:20 offset1:25
	;; [unrolled: 1-line block ×4, first 2 shown]
.LBB0_9:
	s_or_b64 exec, exec, s[4:5]
	s_waitcnt lgkmcnt(0)
	s_barrier
	s_and_saveexec_b64 s[4:5], vcc
	s_cbranch_execz .LBB0_11
; %bb.10:
	ds_read2_b64 v[20:23], v42 offset1:5
	ds_read2_b64 v[24:27], v42 offset0:10 offset1:15
	ds_read2_b64 v[8:11], v42 offset0:20 offset1:25
	;; [unrolled: 1-line block ×4, first 2 shown]
.LBB0_11:
	s_or_b64 exec, exec, s[4:5]
	v_mov_b32_e32 v36, v4
	v_mov_b32_e32 v37, v4
	;; [unrolled: 1-line block ×12, first 2 shown]
	s_waitcnt lgkmcnt(0)
	s_barrier
	s_and_saveexec_b64 s[4:5], vcc
	s_cbranch_execz .LBB0_13
; %bb.12:
	v_mov_b32_e32 v46, v10
	v_mov_b32_e32 v47, v14
	;; [unrolled: 1-line block ×4, first 2 shown]
	v_pk_add_f32 v[46:47], v[46:47], v[48:49] neg_lo:[0,1] neg_hi:[0,1]
	v_mov_b32_e32 v50, v11
	v_mov_b32_e32 v48, v47
	;; [unrolled: 1-line block ×5, first 2 shown]
	v_pk_add_f32 v[46:47], v[46:47], v[48:49]
	v_pk_add_f32 v[48:49], v[26:27], v[18:19]
	v_pk_add_f32 v[50:51], v[50:51], v[52:53] neg_lo:[0,1] neg_hi:[0,1]
	v_fma_f32 v76, -0.5, v48, v22
	v_mov_b32_e32 v48, v51
	v_pk_add_f32 v[50:51], v[50:51], v[48:49]
	v_fma_f32 v77, -0.5, v49, v23
	v_pk_add_f32 v[48:49], v[20:21], v[24:25]
	v_lshl_add_u32 v41, v44, 3, v41
	v_pk_add_f32 v[44:45], v[48:49], v[8:9]
	v_pk_add_f32 v[64:65], v[24:25], v[8:9] neg_lo:[0,1] neg_hi:[0,1]
	v_pk_add_f32 v[66:67], v[16:17], v[12:13] neg_lo:[0,1] neg_hi:[0,1]
	v_pk_add_f32 v[52:53], v[22:23], v[26:27]
	v_pk_add_f32 v[44:45], v[44:45], v[12:13]
	;; [unrolled: 1-line block ×6, first 2 shown]
	s_mov_b32 s14, 0x3f737871
	v_pk_fma_f32 v[22:23], v[66:67], 0.5, v[22:23] op_sel_hi:[1,0,1] neg_lo:[1,0,0] neg_hi:[1,0,0]
	v_pk_add_f32 v[66:67], v[26:27], v[18:19] neg_lo:[0,1] neg_hi:[0,1]
	v_pk_add_f32 v[44:45], v[44:45], v[14:15]
	s_mov_b32 s6, 0x3f167918
	v_pk_mul_f32 v[68:69], v[66:67], s[14:15] op_sel_hi:[1,0]
	v_pk_add_f32 v[72:73], v[10:11], v[14:15] neg_lo:[0,1] neg_hi:[0,1]
	v_pk_add_f32 v[52:53], v[44:45], v[18:19]
	v_pk_add_f32 v[70:71], v[22:23], v[68:69] op_sel:[0,1] op_sel_hi:[1,0]
	v_pk_mul_f32 v[74:75], v[72:73], s[6:7] op_sel_hi:[1,0]
	v_pk_add_f32 v[10:11], v[26:27], v[10:11] neg_lo:[0,1] neg_hi:[0,1]
	v_pk_add_f32 v[14:15], v[18:19], v[14:15] neg_lo:[0,1] neg_hi:[0,1]
	v_pk_add_f32 v[18:19], v[22:23], v[68:69] op_sel:[0,1] op_sel_hi:[1,0] neg_lo:[0,1] neg_hi:[0,1]
	s_mov_b32 s10, 0x3e9e377a
	v_pk_add_f32 v[70:71], v[74:75], v[70:71] op_sel:[1,0] op_sel_hi:[0,1]
	v_pk_add_f32 v[10:11], v[10:11], v[14:15]
	v_pk_add_f32 v[18:19], v[18:19], v[74:75] op_sel:[0,1] op_sel_hi:[1,0] neg_lo:[0,1] neg_hi:[0,1]
	v_pk_fma_f32 v[14:15], v[10:11], s[10:11], v[70:71] op_sel_hi:[1,0,1]
	v_pk_fma_f32 v[22:23], v[10:11], s[10:11], v[18:19] op_sel_hi:[1,0,1]
	v_mov_b32_e32 v47, v67
	s_mov_b32 s11, s6
	v_pk_mul_f32 v[26:27], v[46:47], s[10:11]
	v_fmamk_f32 v19, v73, 0xbf737871, v76
	v_add_f32_e32 v19, v27, v19
	v_mov_b32_e32 v51, v66
	v_add_f32_e32 v68, v26, v19
	v_fmamk_f32 v19, v72, 0x3f737871, v77
	v_pk_mul_f32 v[46:47], v[50:51], s[10:11]
	v_fmac_f32_e32 v76, 0x3f737871, v73
	v_sub_f32_e32 v19, v19, v47
	v_add_f32_e32 v50, v46, v19
	v_sub_f32_e32 v19, v76, v27
	v_fmac_f32_e32 v77, 0xbf737871, v72
	v_pk_add_f32 v[54:55], v[8:9], v[12:13]
	v_pk_add_f32 v[56:57], v[24:25], v[16:17] neg_lo:[0,1] neg_hi:[0,1]
	v_add_f32_e32 v26, v26, v19
	v_add_f32_e32 v19, v47, v77
	v_pk_fma_f32 v[54:55], v[54:55], 0.5, v[20:21] op_sel_hi:[1,0,1] neg_lo:[1,0,0] neg_hi:[1,0,0]
	v_pk_mul_f32 v[58:59], v[56:57], s[14:15] op_sel_hi:[1,0]
	v_pk_add_f32 v[60:61], v[8:9], v[12:13] neg_lo:[0,1] neg_hi:[0,1]
	v_add_f32_e32 v66, v46, v19
	v_mov_b32_e32 v19, v71
	v_pk_mul_f32 v[62:63], v[60:61], s[6:7] op_sel_hi:[1,0]
	v_pk_fma_f32 v[10:11], v[10:11], s[10:11], v[18:19] op_sel_hi:[1,0,1]
	v_pk_add_f32 v[18:19], v[54:55], v[58:59] op_sel:[0,1] op_sel_hi:[1,0] neg_lo:[0,1] neg_hi:[0,1]
	v_pk_add_f32 v[46:47], v[54:55], v[58:59] op_sel:[0,1] op_sel_hi:[1,0]
	v_pk_add_f32 v[18:19], v[18:19], v[62:63] op_sel:[0,1] op_sel_hi:[1,0] neg_lo:[0,1] neg_hi:[0,1]
	v_pk_add_f32 v[54:55], v[46:47], v[62:63] op_sel:[0,1] op_sel_hi:[1,0]
	v_mov_b32_e32 v46, v18
	v_mov_b32_e32 v47, v55
	v_pk_fma_f32 v[58:59], v[64:65], s[10:11], v[46:47] op_sel_hi:[1,0,1]
	s_mov_b32 s16, 0x3f4f1bbd
	v_pk_mul_f32 v[46:47], v[10:11], s[6:7] op_sel_hi:[1,0]
	v_pk_add_f32 v[8:9], v[8:9], v[24:25] neg_lo:[0,1] neg_hi:[0,1]
	v_pk_fma_f32 v[62:63], v[10:11], s[16:17], v[46:47] op_sel:[0,0,1] op_sel_hi:[1,0,0] neg_lo:[0,0,1] neg_hi:[0,0,1]
	v_pk_fma_f32 v[10:11], v[10:11], s[16:17], v[46:47] op_sel:[0,0,1] op_sel_hi:[1,0,0]
	s_mov_b32 s16, 0xbe9e377a
	v_mov_b32_e32 v63, v11
	v_pk_add_f32 v[10:11], v[12:13], v[16:17] neg_lo:[0,1] neg_hi:[0,1]
	v_pk_mul_f32 v[12:13], v[60:61], s[14:15] op_sel_hi:[1,0]
	v_pk_add_f32 v[10:11], v[8:9], v[10:11]
	v_pk_add_f32 v[8:9], v[24:25], v[16:17]
	v_pk_mul_f32 v[16:17], v[56:57], s[6:7] op_sel_hi:[1,0]
	v_pk_fma_f32 v[8:9], v[8:9], 0.5, v[20:21] op_sel_hi:[1,0,1] neg_lo:[1,0,0] neg_hi:[1,0,0]
	s_mov_b32 s15, s10
	v_pk_add_f32 v[20:21], v[8:9], v[12:13] op_sel:[0,1] op_sel_hi:[1,0]
	v_pk_add_f32 v[8:9], v[8:9], v[12:13] op_sel:[0,1] op_sel_hi:[1,0] neg_lo:[0,1] neg_hi:[0,1]
	s_mov_b32 s17, s14
	v_pk_add_f32 v[12:13], v[8:9], v[16:17] op_sel:[0,1] op_sel_hi:[1,0]
	v_pk_add_f32 v[16:17], v[20:21], v[16:17] op_sel:[0,1] op_sel_hi:[1,0] neg_lo:[0,1] neg_hi:[0,1]
	v_mov_b32_e32 v9, v13
	v_mov_b32_e32 v8, v16
	v_pk_fma_f32 v[20:21], v[10:11], s[10:11], v[8:9] op_sel_hi:[1,0,1]
	s_mov_b32 s11, s14
	v_pk_mul_f32 v[8:9], v[66:67], s[14:15] op_sel_hi:[0,1]
	v_pk_fma_f32 v[24:25], v[26:27], s[10:11], v[8:9] neg_lo:[0,0,1] neg_hi:[0,0,1]
	v_pk_fma_f32 v[8:9], v[26:27], s[10:11], v[8:9] op_sel_hi:[0,1,1]
	v_pk_mul_f32 v[26:27], v[50:51], s[14:15] op_sel_hi:[0,1]
	v_mov_b32_e32 v13, v17
	v_mov_b32_e32 v55, v19
	;; [unrolled: 1-line block ×3, first 2 shown]
	v_pk_fma_f32 v[26:27], v[68:69], s[16:17], v[26:27] op_sel_hi:[0,1,1] neg_lo:[0,0,1] neg_hi:[0,0,1]
	v_pk_fma_f32 v[12:13], v[10:11], s[10:11], v[12:13] op_sel_hi:[1,0,1]
	v_pk_fma_f32 v[16:17], v[64:65], s[10:11], v[54:55] op_sel_hi:[1,0,1]
	s_mov_b32 s10, 0xbf4f1bbd
	v_pk_add_f32 v[8:9], v[20:21], v[24:25]
	v_pk_add_f32 v[10:11], v[12:13], v[26:27]
	s_mov_b32 s11, s6
	s_mov_b32 s6, 0xbf167918
	;; [unrolled: 1-line block ×3, first 2 shown]
	ds_write_b128 v41, v[8:11] offset:16
	v_pk_mul_f32 v[8:9], v[22:23], s[6:7] op_sel:[1,0]
	v_pk_add_f32 v[10:11], v[48:49], v[52:53] neg_lo:[0,1] neg_hi:[0,1]
	v_pk_fma_f32 v[14:15], v[14:15], s[10:11], v[8:9] op_sel_hi:[0,1,1]
	v_pk_add_f32 v[8:9], v[16:17], v[14:15]
	ds_write_b128 v41, v[8:11] offset:32
	v_pk_add_f32 v[8:9], v[58:59], v[62:63] neg_lo:[0,1] neg_hi:[0,1]
	v_pk_add_f32 v[10:11], v[20:21], v[24:25] neg_lo:[0,1] neg_hi:[0,1]
	v_pk_add_f32 v[44:45], v[48:49], v[52:53]
	v_pk_add_f32 v[46:47], v[58:59], v[62:63]
	ds_write_b128 v41, v[8:11] offset:48
	v_pk_add_f32 v[8:9], v[12:13], v[26:27] neg_lo:[0,1] neg_hi:[0,1]
	v_pk_add_f32 v[10:11], v[16:17], v[14:15] neg_lo:[0,1] neg_hi:[0,1]
	ds_write_b128 v41, v[44:47]
	ds_write_b128 v41, v[8:11] offset:64
.LBB0_13:
	s_or_b64 exec, exec, s[4:5]
	s_waitcnt lgkmcnt(0)
	s_barrier
	ds_read2_b64 v[8:11], v43 offset1:10
	ds_read2_b64 v[12:15], v43 offset0:20 offset1:30
	ds_read_b64 v[16:17], v43 offset:320
	s_mov_b32 s4, 0x3f737871
	s_mov_b32 s6, 0x3f167918
	s_waitcnt lgkmcnt(2)
	v_pk_mul_f32 v[4:5], v[4:5], v[10:11]
	s_waitcnt lgkmcnt(1)
	v_pk_mul_f32 v[0:1], v[0:1], v[14:15]
	v_pk_fma_f32 v[18:19], v[36:37], v[10:11], v[4:5] op_sel:[0,0,1] op_sel_hi:[1,1,0]
	v_pk_fma_f32 v[4:5], v[36:37], v[10:11], v[4:5] op_sel:[0,0,1] op_sel_hi:[1,1,0] neg_lo:[0,0,1] neg_hi:[0,0,1]
	s_mov_b32 s10, 0x3e9e377a
	v_mov_b32_e32 v19, v5
	v_pk_mul_f32 v[4:5], v[6:7], v[12:13]
	s_nop 0
	v_pk_fma_f32 v[6:7], v[34:35], v[12:13], v[4:5] op_sel:[0,0,1] op_sel_hi:[1,1,0]
	v_pk_fma_f32 v[4:5], v[34:35], v[12:13], v[4:5] op_sel:[0,0,1] op_sel_hi:[1,1,0] neg_lo:[0,0,1] neg_hi:[0,0,1]
	s_nop 0
	v_mov_b32_e32 v7, v5
	v_pk_fma_f32 v[4:5], v[32:33], v[14:15], v[0:1] op_sel:[0,0,1] op_sel_hi:[1,1,0]
	v_pk_fma_f32 v[0:1], v[32:33], v[14:15], v[0:1] op_sel:[0,0,1] op_sel_hi:[1,1,0] neg_lo:[0,0,1] neg_hi:[0,0,1]
	v_pk_add_f32 v[22:23], v[18:19], v[6:7] neg_lo:[0,1] neg_hi:[0,1]
	v_mov_b32_e32 v5, v1
	s_waitcnt lgkmcnt(0)
	v_pk_mul_f32 v[0:1], v[2:3], v[16:17]
	v_pk_add_f32 v[10:11], v[6:7], v[4:5]
	v_pk_fma_f32 v[2:3], v[30:31], v[16:17], v[0:1] op_sel:[0,0,1] op_sel_hi:[1,1,0]
	v_pk_fma_f32 v[0:1], v[30:31], v[16:17], v[0:1] op_sel:[0,0,1] op_sel_hi:[1,1,0] neg_lo:[0,0,1] neg_hi:[0,0,1]
	v_pk_fma_f32 v[10:11], v[10:11], 0.5, v[8:9] op_sel_hi:[1,0,1] neg_lo:[1,0,0] neg_hi:[1,0,0]
	v_mov_b32_e32 v3, v1
	v_pk_add_f32 v[12:13], v[18:19], v[2:3] neg_lo:[0,1] neg_hi:[0,1]
	v_pk_add_f32 v[16:17], v[6:7], v[4:5] neg_lo:[0,1] neg_hi:[0,1]
	v_pk_mul_f32 v[14:15], v[12:13], s[4:5] op_sel_hi:[1,0]
	v_pk_add_f32 v[24:25], v[2:3], v[4:5] neg_lo:[0,1] neg_hi:[0,1]
	v_pk_add_f32 v[0:1], v[8:9], v[18:19]
	v_pk_mul_f32 v[20:21], v[16:17], s[6:7] op_sel_hi:[1,0]
	v_pk_add_f32 v[22:23], v[22:23], v[24:25]
	v_pk_add_f32 v[24:25], v[10:11], v[14:15] op_sel:[0,1] op_sel_hi:[1,0] neg_lo:[0,1] neg_hi:[0,1]
	v_pk_add_f32 v[10:11], v[10:11], v[14:15] op_sel:[0,1] op_sel_hi:[1,0]
	v_pk_add_f32 v[0:1], v[0:1], v[6:7]
	v_pk_add_f32 v[10:11], v[10:11], v[20:21] op_sel:[0,1] op_sel_hi:[1,0]
	v_pk_add_f32 v[14:15], v[24:25], v[20:21] op_sel:[0,1] op_sel_hi:[1,0] neg_lo:[0,1] neg_hi:[0,1]
	v_pk_add_f32 v[0:1], v[0:1], v[4:5]
	v_mov_b32_e32 v20, v14
	v_mov_b32_e32 v21, v11
	v_pk_add_f32 v[0:1], v[0:1], v[2:3]
	v_pk_fma_f32 v[20:21], v[22:23], s[10:11], v[20:21] op_sel_hi:[1,0,1]
	ds_write2_b64 v42, v[0:1], v[20:21] offset1:10
	v_pk_add_f32 v[0:1], v[18:19], v[2:3]
	v_pk_add_f32 v[6:7], v[6:7], v[18:19] neg_lo:[0,1] neg_hi:[0,1]
	v_pk_fma_f32 v[0:1], v[0:1], 0.5, v[8:9] op_sel_hi:[1,0,1] neg_lo:[1,0,0] neg_hi:[1,0,0]
	v_pk_add_f32 v[2:3], v[4:5], v[2:3] neg_lo:[0,1] neg_hi:[0,1]
	v_pk_mul_f32 v[4:5], v[16:17], s[4:5] op_sel_hi:[1,0]
	v_pk_add_f32 v[2:3], v[6:7], v[2:3]
	v_pk_mul_f32 v[6:7], v[12:13], s[6:7] op_sel_hi:[1,0]
	v_pk_add_f32 v[8:9], v[0:1], v[4:5] op_sel:[0,1] op_sel_hi:[1,0]
	v_pk_add_f32 v[0:1], v[0:1], v[4:5] op_sel:[0,1] op_sel_hi:[1,0] neg_lo:[0,1] neg_hi:[0,1]
	v_pk_add_f32 v[4:5], v[8:9], v[6:7] op_sel:[0,1] op_sel_hi:[1,0] neg_lo:[0,1] neg_hi:[0,1]
	v_pk_add_f32 v[0:1], v[0:1], v[6:7] op_sel:[0,1] op_sel_hi:[1,0]
	v_mov_b32_e32 v6, v4
	v_mov_b32_e32 v7, v1
	;; [unrolled: 1-line block ×3, first 2 shown]
	v_pk_fma_f32 v[6:7], v[2:3], s[10:11], v[6:7] op_sel_hi:[1,0,1]
	v_pk_fma_f32 v[0:1], v[2:3], s[10:11], v[0:1] op_sel_hi:[1,0,1]
	v_mov_b32_e32 v11, v15
	ds_write2_b64 v42, v[6:7], v[0:1] offset0:20 offset1:30
	v_pk_fma_f32 v[0:1], v[22:23], s[10:11], v[10:11] op_sel_hi:[1,0,1]
	ds_write_b64 v42, v[0:1] offset:320
	s_waitcnt lgkmcnt(0)
	s_barrier
	s_and_b64 exec, exec, vcc
	s_cbranch_execz .LBB0_15
; %bb.14:
	global_load_dwordx2 v[8:9], v39, s[8:9]
	global_load_dwordx2 v[10:11], v39, s[8:9] offset:40
	global_load_dwordx2 v[12:13], v39, s[8:9] offset:80
	global_load_dwordx2 v[14:15], v39, s[8:9] offset:120
	global_load_dwordx2 v[18:19], v39, s[8:9] offset:160
	global_load_dwordx2 v[24:25], v39, s[8:9] offset:200
	global_load_dwordx2 v[26:27], v39, s[8:9] offset:240
	global_load_dwordx2 v[30:31], v39, s[8:9] offset:280
	global_load_dwordx2 v[32:33], v39, s[8:9] offset:320
	global_load_dwordx2 v[34:35], v39, s[8:9] offset:360
	v_mad_u64_u32 v[20:21], s[4:5], s2, v28, 0
	v_mad_u64_u32 v[22:23], s[6:7], s0, v38, 0
	v_lshl_add_u32 v46, v40, 3, v39
	v_mov_b32_e32 v36, v21
	v_mov_b32_e32 v40, v23
	ds_read2_b64 v[0:3], v46 offset0:5 offset1:10
	ds_read2_b64 v[4:7], v46 offset0:15 offset1:20
	ds_read_b64 v[42:43], v42
	ds_read_b64 v[44:45], v46 offset:360
	v_mad_u64_u32 v[36:37], s[6:7], s3, v28, v[36:37]
	v_mov_b32_e32 v16, s12
	v_mov_b32_e32 v17, s13
	v_mad_u64_u32 v[38:39], s[6:7], s1, v38, v[40:41]
	v_mov_b32_e32 v21, v36
	v_mov_b32_e32 v23, v38
	v_lshl_add_u64 v[16:17], v[20:21], 3, v[16:17]
	v_lshl_add_u64 v[20:21], v[22:23], 3, v[16:17]
	s_mul_i32 s2, s1, 40
	v_mad_u64_u32 v[22:23], s[6:7], s0, 40, v[20:21]
	s_mov_b32 s4, 0x47ae147b
	v_add_u32_e32 v23, s2, v23
	s_mov_b32 s5, 0x3f947ae1
	v_mad_u64_u32 v[36:37], s[6:7], s0, 40, v[22:23]
	v_add_u32_e32 v37, s2, v37
	v_mad_u64_u32 v[38:39], s[6:7], s0, 40, v[36:37]
	v_add_u32_e32 v39, s2, v39
	s_waitcnt vmcnt(9) lgkmcnt(1)
	v_mul_f32_e32 v28, v43, v9
	v_mul_f32_e32 v9, v42, v9
	s_waitcnt vmcnt(8)
	v_mul_f32_e32 v40, v1, v11
	v_mul_f32_e32 v11, v0, v11
	s_waitcnt vmcnt(7)
	;; [unrolled: 3-line block ×3, first 2 shown]
	v_mul_f32_e32 v47, v5, v15
	v_mul_f32_e32 v15, v4, v15
	v_fmac_f32_e32 v28, v42, v8
	v_fma_f32 v8, v8, v43, -v9
	v_fmac_f32_e32 v40, v0, v10
	v_fma_f32 v9, v10, v1, -v11
	;; [unrolled: 2-line block ×4, first 2 shown]
	v_cvt_f64_f32_e32 v[0:1], v28
	v_cvt_f64_f32_e32 v[2:3], v8
	;; [unrolled: 1-line block ×8, first 2 shown]
	v_mul_f64 v[0:1], v[0:1], s[4:5]
	v_mul_f64 v[2:3], v[2:3], s[4:5]
	;; [unrolled: 1-line block ×8, first 2 shown]
	v_cvt_f32_f64_e32 v0, v[0:1]
	v_cvt_f32_f64_e32 v1, v[2:3]
	;; [unrolled: 1-line block ×8, first 2 shown]
	global_store_dwordx2 v[20:21], v[0:1], off
	global_store_dwordx2 v[22:23], v[2:3], off
	;; [unrolled: 1-line block ×4, first 2 shown]
	s_waitcnt vmcnt(9)
	v_mul_f32_e32 v0, v7, v19
	v_fmac_f32_e32 v0, v6, v18
	v_cvt_f64_f32_e32 v[0:1], v0
	v_mul_f64 v[0:1], v[0:1], s[4:5]
	v_cvt_f32_f64_e32 v4, v[0:1]
	v_mul_f32_e32 v0, v6, v19
	v_fma_f32 v0, v18, v7, -v0
	v_cvt_f64_f32_e32 v[0:1], v0
	v_mul_f64 v[0:1], v[0:1], s[4:5]
	v_cvt_f32_f64_e32 v5, v[0:1]
	ds_read2_b64 v[0:3], v46 offset0:25 offset1:30
	v_mad_u64_u32 v[6:7], s[6:7], s0, 40, v[38:39]
	v_add_u32_e32 v7, s2, v7
	global_store_dwordx2 v[6:7], v[4:5], off
	s_waitcnt vmcnt(9) lgkmcnt(0)
	v_mul_f32_e32 v4, v1, v25
	v_fmac_f32_e32 v4, v0, v24
	v_mul_f32_e32 v0, v0, v25
	v_fma_f32 v0, v24, v1, -v0
	v_cvt_f64_f32_e32 v[4:5], v4
	v_cvt_f64_f32_e32 v[0:1], v0
	v_mul_f64 v[4:5], v[4:5], s[4:5]
	v_mul_f64 v[0:1], v[0:1], s[4:5]
	v_cvt_f32_f64_e32 v4, v[4:5]
	v_cvt_f32_f64_e32 v5, v[0:1]
	s_waitcnt vmcnt(8)
	v_mul_f32_e32 v0, v3, v27
	v_fmac_f32_e32 v0, v2, v26
	v_mad_u64_u32 v[6:7], s[6:7], s0, 40, v[6:7]
	v_cvt_f64_f32_e32 v[0:1], v0
	v_add_u32_e32 v7, s2, v7
	v_mul_f64 v[0:1], v[0:1], s[4:5]
	global_store_dwordx2 v[6:7], v[4:5], off
	v_cvt_f32_f64_e32 v4, v[0:1]
	v_mul_f32_e32 v0, v2, v27
	v_fma_f32 v0, v26, v3, -v0
	v_cvt_f64_f32_e32 v[0:1], v0
	v_mul_f64 v[0:1], v[0:1], s[4:5]
	v_cvt_f32_f64_e32 v5, v[0:1]
	ds_read2_b64 v[0:3], v46 offset0:35 offset1:40
	v_mad_u64_u32 v[6:7], s[6:7], s0, 40, v[6:7]
	v_add_u32_e32 v7, s2, v7
	global_store_dwordx2 v[6:7], v[4:5], off
	s_waitcnt vmcnt(9) lgkmcnt(0)
	v_mul_f32_e32 v4, v1, v31
	v_fmac_f32_e32 v4, v0, v30
	v_mul_f32_e32 v0, v0, v31
	v_fma_f32 v0, v30, v1, -v0
	v_cvt_f64_f32_e32 v[4:5], v4
	v_cvt_f64_f32_e32 v[0:1], v0
	v_mul_f64 v[4:5], v[4:5], s[4:5]
	v_mul_f64 v[0:1], v[0:1], s[4:5]
	v_cvt_f32_f64_e32 v4, v[4:5]
	v_cvt_f32_f64_e32 v5, v[0:1]
	v_mad_u64_u32 v[0:1], s[6:7], s0, 40, v[6:7]
	v_add_u32_e32 v1, s2, v1
	global_store_dwordx2 v[0:1], v[4:5], off
	s_waitcnt vmcnt(9)
	v_mul_f32_e32 v4, v3, v33
	v_fmac_f32_e32 v4, v2, v32
	v_mul_f32_e32 v2, v2, v33
	v_fma_f32 v2, v32, v3, -v2
	v_cvt_f64_f32_e32 v[4:5], v4
	v_cvt_f64_f32_e32 v[2:3], v2
	v_mul_f64 v[4:5], v[4:5], s[4:5]
	v_mul_f64 v[2:3], v[2:3], s[4:5]
	v_cvt_f32_f64_e32 v4, v[4:5]
	v_cvt_f32_f64_e32 v5, v[2:3]
	v_mad_u64_u32 v[2:3], s[2:3], s0, v29, 0
	v_mov_b32_e32 v6, v3
	v_mad_u64_u32 v[6:7], s[2:3], s1, v29, v[6:7]
	v_mov_b32_e32 v3, v6
	v_lshl_add_u64 v[2:3], v[2:3], 3, v[16:17]
	global_store_dwordx2 v[2:3], v[4:5], off
	s_waitcnt vmcnt(9)
	v_mul_f32_e32 v2, v45, v35
	v_fmac_f32_e32 v2, v44, v34
	v_cvt_f64_f32_e32 v[2:3], v2
	v_mul_f64 v[2:3], v[2:3], s[4:5]
	v_cvt_f32_f64_e32 v2, v[2:3]
	v_mul_f32_e32 v3, v44, v35
	v_fma_f32 v3, v34, v45, -v3
	v_cvt_f64_f32_e32 v[4:5], v3
	v_mul_f64 v[4:5], v[4:5], s[4:5]
	v_cvt_f32_f64_e32 v3, v[4:5]
	v_mov_b32_e32 v4, 0x50
	v_mad_u64_u32 v[0:1], s[2:3], s0, v4, v[0:1]
	s_mul_i32 s0, s1, 0x50
	v_add_u32_e32 v1, s0, v1
	global_store_dwordx2 v[0:1], v[2:3], off
.LBB0_15:
	s_endpgm
	.section	.rodata,"a",@progbits
	.p2align	6, 0x0
	.amdhsa_kernel bluestein_single_back_len50_dim1_sp_op_CI_CI
		.amdhsa_group_segment_fixed_size 10000
		.amdhsa_private_segment_fixed_size 0
		.amdhsa_kernarg_size 104
		.amdhsa_user_sgpr_count 2
		.amdhsa_user_sgpr_dispatch_ptr 0
		.amdhsa_user_sgpr_queue_ptr 0
		.amdhsa_user_sgpr_kernarg_segment_ptr 1
		.amdhsa_user_sgpr_dispatch_id 0
		.amdhsa_user_sgpr_kernarg_preload_length 0
		.amdhsa_user_sgpr_kernarg_preload_offset 0
		.amdhsa_user_sgpr_private_segment_size 0
		.amdhsa_uses_dynamic_stack 0
		.amdhsa_enable_private_segment 0
		.amdhsa_system_sgpr_workgroup_id_x 1
		.amdhsa_system_sgpr_workgroup_id_y 0
		.amdhsa_system_sgpr_workgroup_id_z 0
		.amdhsa_system_sgpr_workgroup_info 0
		.amdhsa_system_vgpr_workitem_id 0
		.amdhsa_next_free_vgpr 86
		.amdhsa_next_free_sgpr 18
		.amdhsa_accum_offset 88
		.amdhsa_reserve_vcc 1
		.amdhsa_float_round_mode_32 0
		.amdhsa_float_round_mode_16_64 0
		.amdhsa_float_denorm_mode_32 3
		.amdhsa_float_denorm_mode_16_64 3
		.amdhsa_dx10_clamp 1
		.amdhsa_ieee_mode 1
		.amdhsa_fp16_overflow 0
		.amdhsa_tg_split 0
		.amdhsa_exception_fp_ieee_invalid_op 0
		.amdhsa_exception_fp_denorm_src 0
		.amdhsa_exception_fp_ieee_div_zero 0
		.amdhsa_exception_fp_ieee_overflow 0
		.amdhsa_exception_fp_ieee_underflow 0
		.amdhsa_exception_fp_ieee_inexact 0
		.amdhsa_exception_int_div_zero 0
	.end_amdhsa_kernel
	.text
.Lfunc_end0:
	.size	bluestein_single_back_len50_dim1_sp_op_CI_CI, .Lfunc_end0-bluestein_single_back_len50_dim1_sp_op_CI_CI
                                        ; -- End function
	.section	.AMDGPU.csdata,"",@progbits
; Kernel info:
; codeLenInByte = 5260
; NumSgprs: 24
; NumVgprs: 86
; NumAgprs: 0
; TotalNumVgprs: 86
; ScratchSize: 0
; MemoryBound: 0
; FloatMode: 240
; IeeeMode: 1
; LDSByteSize: 10000 bytes/workgroup (compile time only)
; SGPRBlocks: 2
; VGPRBlocks: 10
; NumSGPRsForWavesPerEU: 24
; NumVGPRsForWavesPerEU: 86
; AccumOffset: 88
; Occupancy: 5
; WaveLimiterHint : 1
; COMPUTE_PGM_RSRC2:SCRATCH_EN: 0
; COMPUTE_PGM_RSRC2:USER_SGPR: 2
; COMPUTE_PGM_RSRC2:TRAP_HANDLER: 0
; COMPUTE_PGM_RSRC2:TGID_X_EN: 1
; COMPUTE_PGM_RSRC2:TGID_Y_EN: 0
; COMPUTE_PGM_RSRC2:TGID_Z_EN: 0
; COMPUTE_PGM_RSRC2:TIDIG_COMP_CNT: 0
; COMPUTE_PGM_RSRC3_GFX90A:ACCUM_OFFSET: 21
; COMPUTE_PGM_RSRC3_GFX90A:TG_SPLIT: 0
	.text
	.p2alignl 6, 3212836864
	.fill 256, 4, 3212836864
	.type	__hip_cuid_d095b7e806f2fb7b,@object ; @__hip_cuid_d095b7e806f2fb7b
	.section	.bss,"aw",@nobits
	.globl	__hip_cuid_d095b7e806f2fb7b
__hip_cuid_d095b7e806f2fb7b:
	.byte	0                               ; 0x0
	.size	__hip_cuid_d095b7e806f2fb7b, 1

	.ident	"AMD clang version 19.0.0git (https://github.com/RadeonOpenCompute/llvm-project roc-6.4.0 25133 c7fe45cf4b819c5991fe208aaa96edf142730f1d)"
	.section	".note.GNU-stack","",@progbits
	.addrsig
	.addrsig_sym __hip_cuid_d095b7e806f2fb7b
	.amdgpu_metadata
---
amdhsa.kernels:
  - .agpr_count:     0
    .args:
      - .actual_access:  read_only
        .address_space:  global
        .offset:         0
        .size:           8
        .value_kind:     global_buffer
      - .actual_access:  read_only
        .address_space:  global
        .offset:         8
        .size:           8
        .value_kind:     global_buffer
      - .actual_access:  read_only
        .address_space:  global
        .offset:         16
        .size:           8
        .value_kind:     global_buffer
      - .actual_access:  read_only
        .address_space:  global
        .offset:         24
        .size:           8
        .value_kind:     global_buffer
      - .actual_access:  read_only
        .address_space:  global
        .offset:         32
        .size:           8
        .value_kind:     global_buffer
      - .offset:         40
        .size:           8
        .value_kind:     by_value
      - .address_space:  global
        .offset:         48
        .size:           8
        .value_kind:     global_buffer
      - .address_space:  global
        .offset:         56
        .size:           8
        .value_kind:     global_buffer
      - .address_space:  global
        .offset:         64
        .size:           8
        .value_kind:     global_buffer
      - .address_space:  global
        .offset:         72
        .size:           8
        .value_kind:     global_buffer
      - .offset:         80
        .size:           4
        .value_kind:     by_value
      - .address_space:  global
        .offset:         88
        .size:           8
        .value_kind:     global_buffer
      - .address_space:  global
        .offset:         96
        .size:           8
        .value_kind:     global_buffer
    .group_segment_fixed_size: 10000
    .kernarg_segment_align: 8
    .kernarg_segment_size: 104
    .language:       OpenCL C
    .language_version:
      - 2
      - 0
    .max_flat_workgroup_size: 250
    .name:           bluestein_single_back_len50_dim1_sp_op_CI_CI
    .private_segment_fixed_size: 0
    .sgpr_count:     24
    .sgpr_spill_count: 0
    .symbol:         bluestein_single_back_len50_dim1_sp_op_CI_CI.kd
    .uniform_work_group_size: 1
    .uses_dynamic_stack: false
    .vgpr_count:     86
    .vgpr_spill_count: 0
    .wavefront_size: 64
amdhsa.target:   amdgcn-amd-amdhsa--gfx950
amdhsa.version:
  - 1
  - 2
...

	.end_amdgpu_metadata
